;; amdgpu-corpus repo=ROCm/rocFFT kind=compiled arch=gfx906 opt=O3
	.text
	.amdgcn_target "amdgcn-amd-amdhsa--gfx906"
	.amdhsa_code_object_version 6
	.protected	bluestein_single_fwd_len1792_dim1_dp_op_CI_CI ; -- Begin function bluestein_single_fwd_len1792_dim1_dp_op_CI_CI
	.globl	bluestein_single_fwd_len1792_dim1_dp_op_CI_CI
	.p2align	8
	.type	bluestein_single_fwd_len1792_dim1_dp_op_CI_CI,@function
bluestein_single_fwd_len1792_dim1_dp_op_CI_CI: ; @bluestein_single_fwd_len1792_dim1_dp_op_CI_CI
; %bb.0:
	s_load_dwordx4 s[16:19], s[4:5], 0x28
	v_mul_u32_u24_e32 v1, 0x125, v0
	v_add_u32_sdwa v184, s6, v1 dst_sel:DWORD dst_unused:UNUSED_PAD src0_sel:DWORD src1_sel:WORD_1
	v_mov_b32_e32 v185, 0
	s_waitcnt lgkmcnt(0)
	v_cmp_gt_u64_e32 vcc, s[16:17], v[184:185]
	s_and_saveexec_b64 s[0:1], vcc
	s_cbranch_execz .LBB0_10
; %bb.1:
	s_load_dwordx4 s[0:3], s[4:5], 0x18
	s_load_dwordx4 s[12:15], s[4:5], 0x0
	v_mov_b32_e32 v12, 0xffffba00
	s_load_dwordx2 s[4:5], s[4:5], 0x38
                                        ; implicit-def: $vgpr164_vgpr165
                                        ; implicit-def: $vgpr168_vgpr169
                                        ; implicit-def: $vgpr172_vgpr173
                                        ; implicit-def: $vgpr176_vgpr177
                                        ; implicit-def: $vgpr180_vgpr181
	s_waitcnt lgkmcnt(0)
	s_load_dwordx4 s[8:11], s[0:1], 0x0
	s_movk_i32 s0, 0xe0
	v_mul_lo_u16_sdwa v1, v1, s0 dst_sel:DWORD dst_unused:UNUSED_PAD src0_sel:WORD_1 src1_sel:DWORD
	v_sub_u16_e32 v186, v0, v1
	v_lshlrev_b32_e32 v185, 4, v186
	s_waitcnt lgkmcnt(0)
	v_mad_u64_u32 v[0:1], s[6:7], s10, v184, 0
	v_mad_u64_u32 v[2:3], s[6:7], s8, v186, 0
	s_mul_i32 s1, s9, 0x1c00
	s_movk_i32 s10, 0x3000
	v_mad_u64_u32 v[4:5], s[6:7], s11, v184, v[1:2]
	v_lshlrev_b32_e32 v187, 6, v186
	v_and_b32_e32 v101, 3, v186
	v_mad_u64_u32 v[5:6], s[6:7], s9, v186, v[3:4]
	v_mov_b32_e32 v1, v4
	v_lshlrev_b64 v[0:1], 4, v[0:1]
	v_mov_b32_e32 v6, s19
	v_mov_b32_e32 v3, v5
	v_add_co_u32_e32 v4, vcc, s18, v0
	v_addc_co_u32_e32 v5, vcc, v6, v1, vcc
	v_lshlrev_b64 v[0:1], 4, v[2:3]
	v_mov_b32_e32 v2, s13
	v_add_co_u32_e32 v0, vcc, v4, v0
	v_addc_co_u32_e32 v1, vcc, v5, v1, vcc
	v_add_co_u32_e32 v26, vcc, s12, v185
	s_mul_hi_u32 s6, s8, 0x1c00
	v_addc_co_u32_e32 v27, vcc, 0, v2, vcc
	s_add_i32 s1, s6, s1
	s_mul_i32 s7, s8, 0x1c00
	v_mov_b32_e32 v2, s1
	v_add_co_u32_e32 v4, vcc, s7, v0
	v_addc_co_u32_e32 v5, vcc, v1, v2, vcc
	s_movk_i32 s6, 0x1000
	global_load_dwordx4 v[32:35], v[0:1], off
	global_load_dwordx4 v[36:39], v[4:5], off
	v_add_co_u32_e32 v0, vcc, s6, v26
	v_addc_co_u32_e32 v1, vcc, 0, v27, vcc
	v_mov_b32_e32 v6, s1
	v_add_co_u32_e32 v8, vcc, s7, v4
	v_addc_co_u32_e32 v9, vcc, v5, v6, vcc
	v_add_co_u32_e32 v4, vcc, s10, v26
	v_addc_co_u32_e32 v5, vcc, 0, v27, vcc
	global_load_dwordx4 v[40:43], v[8:9], off
	v_mov_b32_e32 v10, s1
	v_add_co_u32_e32 v8, vcc, s7, v8
	v_addc_co_u32_e32 v9, vcc, v9, v10, vcc
	s_movk_i32 s10, 0x5000
	v_add_co_u32_e32 v10, vcc, s10, v26
	v_mad_u64_u32 v[16:17], s[10:11], s8, v12, v[8:9]
	s_mulk_i32 s9, 0xba00
	v_addc_co_u32_e32 v11, vcc, 0, v27, vcc
	s_sub_i32 s8, s9, s8
	v_add_u32_e32 v17, s8, v17
	v_mov_b32_e32 v18, s1
	v_add_co_u32_e32 v20, vcc, s7, v16
	v_addc_co_u32_e32 v21, vcc, v17, v18, vcc
	s_movk_i32 s8, 0x2000
	global_load_dwordx4 v[0:3], v[0:1], off offset:3072
	v_mov_b32_e32 v22, s1
	global_load_dwordx4 v[4:7], v[4:5], off offset:2048
	v_mov_b32_e32 v60, s1
	global_load_dwordx4 v[44:47], v[8:9], off
	global_load_dwordx4 v[12:15], v[10:11], off offset:1024
	global_load_dwordx4 v[48:51], v[16:17], off
	global_load_dwordx4 v[28:31], v185, s[12:13]
	s_nop 0
	global_load_dwordx4 v[8:11], v185, s[12:13] offset:3584
	v_add_co_u32_e32 v16, vcc, s8, v26
	v_addc_co_u32_e32 v17, vcc, 0, v27, vcc
	v_add_co_u32_e32 v24, vcc, s7, v20
	v_addc_co_u32_e32 v25, vcc, v21, v22, vcc
	s_movk_i32 s8, 0x4000
	global_load_dwordx4 v[52:55], v[20:21], off
	v_add_co_u32_e32 v20, vcc, s8, v26
	v_addc_co_u32_e32 v21, vcc, 0, v27, vcc
	global_load_dwordx4 v[56:59], v[24:25], off
	v_add_co_u32_e32 v24, vcc, s7, v24
	v_addc_co_u32_e32 v25, vcc, v25, v60, vcc
	s_movk_i32 s1, 0x6000
	global_load_dwordx4 v[16:19], v[16:17], off offset:2560
	s_load_dwordx4 s[8:11], s[2:3], 0x0
	global_load_dwordx4 v[60:63], v[24:25], off
	v_add_co_u32_e32 v24, vcc, s1, v26
	global_load_dwordx4 v[20:23], v[20:21], off offset:1536
	v_addc_co_u32_e32 v25, vcc, 0, v27, vcc
	global_load_dwordx4 v[24:27], v[24:25], off offset:512
	v_and_b32_e32 v118, 63, v186
	s_waitcnt vmcnt(12)
	v_mul_f64 v[68:69], v[38:39], v[2:3]
	v_mul_f64 v[70:71], v[36:37], v[2:3]
	s_waitcnt vmcnt(11)
	v_mul_f64 v[72:73], v[42:43], v[6:7]
	v_mul_f64 v[74:75], v[40:41], v[6:7]
	;; [unrolled: 3-line block ×3, first 2 shown]
	v_mul_f64 v[76:77], v[46:47], v[14:15]
	v_mul_f64 v[78:79], v[44:45], v[14:15]
	v_fma_f64 v[36:37], v[36:37], v[0:1], v[68:69]
	v_fma_f64 v[38:39], v[38:39], v[0:1], -v[70:71]
	v_fma_f64 v[40:41], v[40:41], v[4:5], v[72:73]
	v_fma_f64 v[42:43], v[42:43], v[4:5], -v[74:75]
	;; [unrolled: 2-line block ×3, first 2 shown]
	s_waitcnt vmcnt(6)
	v_mul_f64 v[64:65], v[50:51], v[10:11]
	v_mul_f64 v[66:67], v[48:49], v[10:11]
	v_fma_f64 v[44:45], v[44:45], v[12:13], v[76:77]
	v_fma_f64 v[46:47], v[46:47], v[12:13], -v[78:79]
	v_fma_f64 v[48:49], v[48:49], v[8:9], v[64:65]
	v_fma_f64 v[50:51], v[50:51], v[8:9], -v[66:67]
	s_waitcnt vmcnt(3)
	v_mul_f64 v[68:69], v[54:55], v[18:19]
	v_mul_f64 v[70:71], v[52:53], v[18:19]
	s_waitcnt vmcnt(1)
	v_mul_f64 v[72:73], v[58:59], v[22:23]
	v_mul_f64 v[74:75], v[56:57], v[22:23]
	;; [unrolled: 3-line block ×3, first 2 shown]
	v_fma_f64 v[52:53], v[52:53], v[16:17], v[68:69]
	v_fma_f64 v[54:55], v[54:55], v[16:17], -v[70:71]
	v_fma_f64 v[56:57], v[56:57], v[20:21], v[72:73]
	v_fma_f64 v[58:59], v[58:59], v[20:21], -v[74:75]
	v_fma_f64 v[60:61], v[60:61], v[24:25], v[76:77]
	v_fma_f64 v[62:63], v[62:63], v[24:25], -v[78:79]
	ds_write_b128 v185, v[32:35]
	ds_write_b128 v185, v[36:39] offset:7168
	ds_write_b128 v185, v[40:43] offset:14336
	ds_write_b128 v185, v[44:47] offset:21504
	ds_write_b128 v185, v[48:51] offset:3584
	ds_write_b128 v185, v[52:55] offset:10752
	ds_write_b128 v185, v[56:59] offset:17920
	ds_write_b128 v185, v[60:63] offset:25088
	s_waitcnt lgkmcnt(0)
	s_barrier
	ds_read_b128 v[32:35], v185 offset:14336
	ds_read_b128 v[36:39], v185 offset:21504
	ds_read_b128 v[40:43], v185
	ds_read_b128 v[44:47], v185 offset:3584
	ds_read_b128 v[48:51], v185 offset:7168
	ds_read_b128 v[52:55], v185 offset:10752
	ds_read_b128 v[56:59], v185 offset:17920
	ds_read_b128 v[60:63], v185 offset:25088
	s_waitcnt lgkmcnt(5)
	v_add_f64 v[64:65], v[40:41], -v[32:33]
	v_add_f64 v[66:67], v[42:43], -v[34:35]
	s_waitcnt lgkmcnt(3)
	v_add_f64 v[68:69], v[48:49], -v[36:37]
	v_add_f64 v[36:37], v[50:51], -v[38:39]
	s_waitcnt lgkmcnt(1)
	v_add_f64 v[70:71], v[44:45], -v[56:57]
	v_add_f64 v[72:73], v[46:47], -v[58:59]
	s_waitcnt lgkmcnt(0)
	v_add_f64 v[56:57], v[52:53], -v[60:61]
	v_add_f64 v[58:59], v[54:55], -v[62:63]
	v_fma_f64 v[60:61], v[40:41], 2.0, -v[64:65]
	v_fma_f64 v[62:63], v[42:43], 2.0, -v[66:67]
	;; [unrolled: 1-line block ×8, first 2 shown]
	v_add_f64 v[36:37], v[64:65], -v[36:37]
	v_add_f64 v[38:39], v[66:67], v[68:69]
	v_add_f64 v[32:33], v[60:61], -v[32:33]
	v_add_f64 v[34:35], v[62:63], -v[34:35]
	;; [unrolled: 1-line block ×3, first 2 shown]
	v_add_f64 v[46:47], v[72:73], v[56:57]
	v_add_f64 v[40:41], v[74:75], -v[40:41]
	v_add_f64 v[42:43], v[77:78], -v[42:43]
	v_fma_f64 v[52:53], v[64:65], 2.0, -v[36:37]
	v_fma_f64 v[54:55], v[66:67], 2.0, -v[38:39]
	;; [unrolled: 1-line block ×8, first 2 shown]
	v_add_co_u32_e32 v76, vcc, s0, v186
	v_lshlrev_b32_e32 v188, 6, v76
	s_barrier
	ds_write_b128 v187, v[48:51]
	ds_write_b128 v187, v[52:55] offset:16
	ds_write_b128 v187, v[32:35] offset:32
	ds_write_b128 v187, v[36:39] offset:48
	ds_write_b128 v188, v[56:59]
	ds_write_b128 v188, v[60:63] offset:16
	ds_write_b128 v188, v[40:43] offset:32
	;; [unrolled: 1-line block ×3, first 2 shown]
	v_mad_u64_u32 v[44:45], s[0:1], v101, 48, s[14:15]
	s_waitcnt lgkmcnt(0)
	s_barrier
	global_load_dwordx4 v[40:43], v[44:45], off
	global_load_dwordx4 v[36:39], v[44:45], off offset:16
	global_load_dwordx4 v[32:35], v[44:45], off offset:32
	ds_read_b128 v[44:47], v185
	ds_read_b128 v[48:51], v185 offset:3584
	ds_read_b128 v[52:55], v185 offset:7168
	;; [unrolled: 1-line block ×7, first 2 shown]
	s_movk_i32 s0, 0x3f0
	s_waitcnt vmcnt(0) lgkmcnt(0)
	s_barrier
	v_and_b32_e32 v119, 63, v76
	v_mul_f64 v[77:78], v[54:55], v[42:43]
	v_mul_f64 v[79:80], v[52:53], v[42:43]
	;; [unrolled: 1-line block ×12, first 2 shown]
	v_fma_f64 v[52:53], v[52:53], v[40:41], -v[77:78]
	v_fma_f64 v[54:55], v[54:55], v[40:41], v[79:80]
	v_fma_f64 v[60:61], v[60:61], v[36:37], -v[81:82]
	v_fma_f64 v[62:63], v[62:63], v[36:37], v[83:84]
	;; [unrolled: 2-line block ×6, first 2 shown]
	v_add_f64 v[60:61], v[44:45], -v[60:61]
	v_add_f64 v[62:63], v[46:47], -v[62:63]
	;; [unrolled: 1-line block ×8, first 2 shown]
	v_fma_f64 v[72:73], v[44:45], 2.0, -v[60:61]
	v_fma_f64 v[74:75], v[46:47], 2.0, -v[62:63]
	;; [unrolled: 1-line block ×8, first 2 shown]
	v_add_f64 v[44:45], v[60:61], -v[70:71]
	v_add_f64 v[58:59], v[81:82], v[64:65]
	v_add_f64 v[48:49], v[72:73], -v[46:47]
	v_add_f64 v[50:51], v[74:75], -v[52:53]
	v_add_f64 v[46:47], v[62:63], v[68:69]
	v_lshlrev_b32_e32 v78, 2, v186
	v_add_f64 v[52:53], v[83:84], -v[54:55]
	v_add_f64 v[54:55], v[85:86], -v[56:57]
	;; [unrolled: 1-line block ×3, first 2 shown]
	v_fma_f64 v[60:61], v[60:61], 2.0, -v[44:45]
	v_fma_f64 v[64:65], v[72:73], 2.0, -v[48:49]
	;; [unrolled: 1-line block ×8, first 2 shown]
	v_and_or_b32 v79, v78, s0, v101
	v_lshlrev_b32_e32 v77, 2, v76
	v_lshlrev_b32_e32 v189, 4, v79
	s_movk_i32 s0, 0x7f0
	ds_write_b128 v189, v[64:67]
	ds_write_b128 v189, v[60:63] offset:64
	ds_write_b128 v189, v[48:51] offset:128
	;; [unrolled: 1-line block ×3, first 2 shown]
	v_and_or_b32 v44, v77, s0, v101
	v_lshlrev_b32_e32 v190, 4, v44
	ds_write_b128 v190, v[68:71]
	ds_write_b128 v190, v[72:75] offset:64
	ds_write_b128 v190, v[52:55] offset:128
	;; [unrolled: 1-line block ×3, first 2 shown]
	v_and_b32_e32 v58, 15, v186
	v_mad_u64_u32 v[56:57], s[0:1], v58, 48, s[14:15]
	s_waitcnt lgkmcnt(0)
	s_barrier
	global_load_dwordx4 v[52:55], v[56:57], off offset:192
	global_load_dwordx4 v[48:51], v[56:57], off offset:208
	;; [unrolled: 1-line block ×3, first 2 shown]
	s_movk_i32 s1, 0x3c0
	s_movk_i32 s0, 0x7c0
	v_and_or_b32 v56, v78, s1, v58
	v_lshlrev_b32_e32 v192, 4, v56
	v_and_or_b32 v56, v77, s0, v58
	v_lshlrev_b32_e32 v191, 4, v56
	ds_read_b128 v[56:59], v185 offset:7168
	ds_read_b128 v[60:63], v185 offset:10752
	;; [unrolled: 1-line block ×6, first 2 shown]
	ds_read_b128 v[83:86], v185
	ds_read_b128 v[87:90], v185 offset:3584
	v_mad_u64_u32 v[96:97], s[0:1], v118, 48, s[14:15]
	s_waitcnt vmcnt(0) lgkmcnt(0)
	s_barrier
	v_mul_f64 v[91:92], v[58:59], v[54:55]
	v_mul_f64 v[93:94], v[56:57], v[54:55]
	;; [unrolled: 1-line block ×12, first 2 shown]
	v_fma_f64 v[56:57], v[56:57], v[52:53], -v[91:92]
	v_fma_f64 v[58:59], v[58:59], v[52:53], v[93:94]
	v_fma_f64 v[64:65], v[64:65], v[48:49], -v[98:99]
	v_fma_f64 v[66:67], v[66:67], v[48:49], v[100:101]
	;; [unrolled: 2-line block ×6, first 2 shown]
	v_add_f64 v[91:92], v[83:84], -v[64:65]
	v_add_f64 v[93:94], v[85:86], -v[66:67]
	;; [unrolled: 1-line block ×8, first 2 shown]
	v_fma_f64 v[81:82], v[83:84], 2.0, -v[91:92]
	v_fma_f64 v[85:86], v[85:86], 2.0, -v[93:94]
	;; [unrolled: 1-line block ×8, first 2 shown]
	v_add_f64 v[56:57], v[91:92], -v[66:67]
	v_add_f64 v[58:59], v[93:94], v[64:65]
	v_add_f64 v[64:65], v[81:82], -v[70:71]
	v_add_f64 v[66:67], v[85:86], -v[74:75]
	;; [unrolled: 1-line block ×5, first 2 shown]
	v_add_f64 v[62:63], v[100:101], v[72:73]
	v_fma_f64 v[72:73], v[91:92], 2.0, -v[56:57]
	v_fma_f64 v[74:75], v[93:94], 2.0, -v[58:59]
	;; [unrolled: 1-line block ×8, first 2 shown]
	ds_write_b128 v192, v[56:59] offset:768
	ds_write_b128 v192, v[72:75] offset:256
	;; [unrolled: 1-line block ×3, first 2 shown]
	ds_write_b128 v192, v[83:86]
	ds_write_b128 v191, v[87:90]
	ds_write_b128 v191, v[79:82] offset:256
	ds_write_b128 v191, v[68:71] offset:512
	;; [unrolled: 1-line block ×3, first 2 shown]
	v_mad_u64_u32 v[79:80], s[0:1], v119, 48, s[14:15]
	s_waitcnt lgkmcnt(0)
	s_barrier
	global_load_dwordx4 v[68:71], v[96:97], off offset:960
	global_load_dwordx4 v[72:75], v[96:97], off offset:976
	;; [unrolled: 1-line block ×6, first 2 shown]
	s_movk_i32 s0, 0x300
	s_movk_i32 s1, 0x700
	v_and_or_b32 v78, v78, s0, v118
	v_and_or_b32 v77, v77, s1, v119
	v_lshlrev_b32_e32 v194, 4, v78
	v_lshlrev_b32_e32 v193, 4, v77
	ds_read_b128 v[77:80], v185 offset:7168
	ds_read_b128 v[81:84], v185 offset:10752
	;; [unrolled: 1-line block ×6, first 2 shown]
	ds_read_b128 v[108:111], v185
	ds_read_b128 v[112:115], v185 offset:3584
	s_waitcnt vmcnt(0) lgkmcnt(0)
	s_barrier
	v_cmp_gt_u16_e64 s[0:1], 32, v186
	v_mul_f64 v[118:119], v[87:88], v[74:75]
	v_mul_f64 v[120:121], v[85:86], v[74:75]
	;; [unrolled: 1-line block ×12, first 2 shown]
	v_fma_f64 v[77:78], v[77:78], v[68:69], -v[89:90]
	v_fma_f64 v[79:80], v[79:80], v[68:69], v[116:117]
	v_fma_f64 v[85:86], v[85:86], v[72:73], -v[118:119]
	v_fma_f64 v[87:88], v[87:88], v[72:73], v[120:121]
	;; [unrolled: 2-line block ×6, first 2 shown]
	v_add_f64 v[106:107], v[108:109], -v[85:86]
	v_add_f64 v[116:117], v[110:111], -v[87:88]
	;; [unrolled: 1-line block ×8, first 2 shown]
	v_fma_f64 v[102:103], v[108:109], 2.0, -v[106:107]
	v_fma_f64 v[108:109], v[110:111], 2.0, -v[116:117]
	;; [unrolled: 1-line block ×8, first 2 shown]
	v_add_f64 v[77:78], v[106:107], -v[87:88]
	v_add_f64 v[79:80], v[116:117], v[85:86]
	v_add_f64 v[81:82], v[102:103], -v[100:101]
	v_add_f64 v[83:84], v[108:109], -v[104:105]
	;; [unrolled: 1-line block ×3, first 2 shown]
	v_add_f64 v[130:131], v[118:119], v[96:97]
	v_add_f64 v[85:86], v[110:111], -v[114:115]
	v_add_f64 v[87:88], v[112:113], -v[120:121]
	v_fma_f64 v[96:97], v[106:107], 2.0, -v[77:78]
	v_fma_f64 v[98:99], v[116:117], 2.0, -v[79:80]
	;; [unrolled: 1-line block ×8, first 2 shown]
	ds_write_b128 v194, v[77:80] offset:3072
	ds_write_b128 v194, v[96:99] offset:1024
	;; [unrolled: 1-line block ×3, first 2 shown]
	ds_write_b128 v194, v[104:107]
	ds_write_b128 v193, v[108:111]
	ds_write_b128 v193, v[100:103] offset:1024
	ds_write_b128 v193, v[85:88] offset:2048
	;; [unrolled: 1-line block ×3, first 2 shown]
	s_waitcnt lgkmcnt(0)
	s_barrier
	ds_read_b128 v[132:135], v185
	ds_read_b128 v[160:163], v185 offset:4096
	ds_read_b128 v[156:159], v185 offset:8192
	;; [unrolled: 1-line block ×6, first 2 shown]
                                        ; implicit-def: $vgpr136_vgpr137
	s_and_saveexec_b64 s[2:3], s[0:1]
	s_cbranch_execz .LBB0_3
; %bb.2:
	ds_read_b128 v[128:131], v185 offset:3584
	ds_read_b128 v[164:167], v185 offset:7680
	;; [unrolled: 1-line block ×7, first 2 shown]
.LBB0_3:
	s_or_b64 exec, exec, s[2:3]
	v_mov_b32_e32 v78, s15
	s_movk_i32 s7, 0x60
	v_mov_b32_e32 v77, s14
	v_mad_u64_u32 v[96:97], s[2:3], v186, s7, v[77:78]
	v_and_b32_e32 v76, 0xff, v76
	v_mad_u64_u32 v[98:99], s[2:3], v76, s7, v[77:78]
	global_load_dwordx4 v[104:107], v[96:97], off offset:4048
	global_load_dwordx4 v[108:111], v[96:97], off offset:4032
	;; [unrolled: 1-line block ×8, first 2 shown]
	v_add_co_u32_e32 v96, vcc, s6, v96
	v_addc_co_u32_e32 v97, vcc, 0, v97, vcc
	global_load_dwordx4 v[120:123], v[96:97], off
	global_load_dwordx4 v[124:127], v[96:97], off offset:16
	v_add_co_u32_e32 v100, vcc, s6, v98
	v_addc_co_u32_e32 v101, vcc, 0, v99, vcc
	global_load_dwordx4 v[96:99], v[100:101], off
	s_nop 0
	global_load_dwordx4 v[100:103], v[100:101], off offset:16
	s_mov_b32 s6, 0x37e14327
	s_mov_b32 s2, 0x36b3c0b5
	;; [unrolled: 1-line block ×20, first 2 shown]
	s_waitcnt vmcnt(9) lgkmcnt(3)
	v_mul_f64 v[203:204], v[154:155], v[118:119]
	v_mul_f64 v[205:206], v[152:153], v[118:119]
	s_waitcnt vmcnt(8) lgkmcnt(2)
	v_mul_f64 v[207:208], v[150:151], v[114:115]
	v_mul_f64 v[199:200], v[158:159], v[106:107]
	;; [unrolled: 1-line block ×6, first 2 shown]
	s_waitcnt vmcnt(7)
	v_mul_f64 v[215:216], v[170:171], v[78:79]
	s_waitcnt vmcnt(3) lgkmcnt(1)
	v_mul_f64 v[227:228], v[142:143], v[122:123]
	v_mul_f64 v[229:230], v[140:141], v[122:123]
	s_waitcnt vmcnt(2) lgkmcnt(0)
	v_mul_f64 v[231:232], v[146:147], v[126:127]
	v_mul_f64 v[233:234], v[144:145], v[126:127]
	;; [unrolled: 1-line block ×5, first 2 shown]
	v_fma_f64 v[160:161], v[160:161], v[108:109], -v[195:196]
	v_fma_f64 v[162:163], v[162:163], v[108:109], v[197:198]
	v_fma_f64 v[156:157], v[156:157], v[104:105], -v[199:200]
	v_fma_f64 v[158:159], v[158:159], v[104:105], v[201:202]
	v_fma_f64 v[144:145], v[144:145], v[124:125], -v[231:232]
	v_fma_f64 v[146:147], v[146:147], v[124:125], v[233:234]
	v_fma_f64 v[140:141], v[140:141], v[120:121], -v[227:228]
	v_fma_f64 v[142:143], v[142:143], v[120:121], v[229:230]
	v_mul_f64 v[211:212], v[166:167], v[90:91]
	v_mul_f64 v[213:214], v[164:165], v[90:91]
	v_fma_f64 v[152:153], v[152:153], v[116:117], -v[203:204]
	v_fma_f64 v[154:155], v[154:155], v[116:117], v[205:206]
	v_fma_f64 v[148:149], v[148:149], v[112:113], -v[207:208]
	v_fma_f64 v[150:151], v[150:151], v[112:113], v[209:210]
	;; [unrolled: 2-line block ×4, first 2 shown]
	v_add_f64 v[168:169], v[160:161], v[144:145]
	v_add_f64 v[170:171], v[162:163], v[146:147]
	;; [unrolled: 1-line block ×4, first 2 shown]
	v_mul_f64 v[223:224], v[178:179], v[82:83]
	v_mul_f64 v[225:226], v[176:177], v[82:83]
	v_fma_f64 v[195:196], v[164:165], v[88:89], -v[211:212]
	v_fma_f64 v[197:198], v[166:167], v[88:89], v[213:214]
	v_add_f64 v[164:165], v[152:153], v[148:149]
	v_add_f64 v[166:167], v[154:155], v[150:151]
	v_add_f64 v[148:149], v[148:149], -v[152:153]
	v_add_f64 v[150:151], v[150:151], -v[154:155]
	;; [unrolled: 1-line block ×6, first 2 shown]
	v_add_f64 v[152:153], v[172:173], v[168:169]
	v_add_f64 v[154:155], v[174:175], v[170:171]
	v_fma_f64 v[207:208], v[176:177], v[80:81], -v[223:224]
	v_fma_f64 v[209:210], v[178:179], v[80:81], v[225:226]
	v_add_f64 v[160:161], v[172:173], -v[168:169]
	v_add_f64 v[162:163], v[174:175], -v[170:171]
	;; [unrolled: 1-line block ×6, first 2 shown]
	v_add_f64 v[172:173], v[148:149], v[140:141]
	v_add_f64 v[174:175], v[150:151], v[142:143]
	v_add_f64 v[176:177], v[148:149], -v[140:141]
	v_add_f64 v[178:179], v[150:151], -v[142:143]
	;; [unrolled: 1-line block ×4, first 2 shown]
	v_add_f64 v[152:153], v[164:165], v[152:153]
	v_add_f64 v[154:155], v[166:167], v[154:155]
	v_add_f64 v[148:149], v[144:145], -v[148:149]
	v_add_f64 v[150:151], v[146:147], -v[150:151]
	v_add_f64 v[144:145], v[172:173], v[144:145]
	v_add_f64 v[146:147], v[174:175], v[146:147]
	v_mul_f64 v[164:165], v[156:157], s[6:7]
	v_mul_f64 v[166:167], v[158:159], s[6:7]
	;; [unrolled: 1-line block ×6, first 2 shown]
	v_add_f64 v[156:157], v[132:133], v[152:153]
	v_add_f64 v[158:159], v[134:135], v[154:155]
	v_mul_f64 v[132:133], v[140:141], s[14:15]
	v_mul_f64 v[134:135], v[142:143], s[14:15]
	s_waitcnt vmcnt(1)
	v_mul_f64 v[235:236], v[182:183], v[98:99]
	v_mul_f64 v[237:238], v[180:181], v[98:99]
	s_waitcnt vmcnt(0)
	v_mul_f64 v[239:240], v[138:139], v[102:103]
	v_mul_f64 v[241:242], v[136:137], v[102:103]
	v_fma_f64 v[168:169], v[168:169], s[2:3], v[164:165]
	v_fma_f64 v[170:171], v[170:171], s[2:3], v[166:167]
	v_fma_f64 v[172:173], v[160:161], s[20:21], -v[172:173]
	v_fma_f64 v[174:175], v[162:163], s[20:21], -v[174:175]
	v_fma_f64 v[152:153], v[152:153], s[18:19], v[156:157]
	v_fma_f64 v[154:155], v[154:155], s[18:19], v[158:159]
	v_fma_f64 v[160:161], v[160:161], s[22:23], -v[164:165]
	v_fma_f64 v[162:163], v[162:163], s[22:23], -v[166:167]
	;; [unrolled: 1-line block ×7, first 2 shown]
	v_fma_f64 v[182:183], v[182:183], v[96:97], v[237:238]
	v_fma_f64 v[164:165], v[148:149], s[24:25], v[176:177]
	;; [unrolled: 1-line block ×3, first 2 shown]
	v_add_f64 v[148:149], v[168:169], v[152:153]
	v_add_f64 v[150:151], v[170:171], v[154:155]
	;; [unrolled: 1-line block ×6, first 2 shown]
	v_fma_f64 v[134:135], v[146:147], s[26:27], v[134:135]
	v_fma_f64 v[132:133], v[144:145], s[26:27], v[132:133]
	;; [unrolled: 1-line block ×4, first 2 shown]
	v_fma_f64 v[136:137], v[136:137], v[100:101], -v[239:240]
	v_fma_f64 v[138:139], v[138:139], v[100:101], v[241:242]
	v_fma_f64 v[211:212], v[146:147], s[26:27], v[166:167]
	;; [unrolled: 1-line block ×3, first 2 shown]
	v_add_f64 v[164:165], v[134:135], v[152:153]
	v_add_f64 v[166:167], v[154:155], -v[132:133]
	v_add_f64 v[168:169], v[172:173], -v[142:143]
	v_add_f64 v[170:171], v[140:141], v[174:175]
	v_add_f64 v[172:173], v[142:143], v[172:173]
	v_add_f64 v[174:175], v[174:175], -v[140:141]
	v_add_f64 v[176:177], v[152:153], -v[134:135]
	v_add_f64 v[178:179], v[132:133], v[154:155]
	v_add_f64 v[132:133], v[195:196], v[136:137]
	;; [unrolled: 1-line block ×5, first 2 shown]
	v_add_f64 v[136:137], v[195:196], -v[136:137]
	v_add_f64 v[138:139], v[197:198], -v[138:139]
	;; [unrolled: 1-line block ×4, first 2 shown]
	v_add_f64 v[152:153], v[203:204], v[207:208]
	v_add_f64 v[154:155], v[205:206], v[209:210]
	v_add_f64 v[180:181], v[207:208], -v[203:204]
	v_add_f64 v[182:183], v[209:210], -v[205:206]
	v_add_f64 v[195:196], v[140:141], v[132:133]
	v_add_f64 v[197:198], v[142:143], v[134:135]
	v_add_f64 v[199:200], v[140:141], -v[132:133]
	v_add_f64 v[201:202], v[142:143], -v[134:135]
	;; [unrolled: 1-line block ×6, first 2 shown]
	v_add_f64 v[203:204], v[180:181], v[144:145]
	v_add_f64 v[205:206], v[182:183], v[146:147]
	v_add_f64 v[207:208], v[180:181], -v[144:145]
	v_add_f64 v[209:210], v[182:183], -v[146:147]
	v_add_f64 v[195:196], v[152:153], v[195:196]
	v_add_f64 v[197:198], v[154:155], v[197:198]
	v_add_f64 v[144:145], v[144:145], -v[136:137]
	v_add_f64 v[146:147], v[146:147], -v[138:139]
	;; [unrolled: 1-line block ×4, first 2 shown]
	v_add_f64 v[136:137], v[203:204], v[136:137]
	v_add_f64 v[138:139], v[205:206], v[138:139]
	;; [unrolled: 1-line block ×4, first 2 shown]
	v_mul_f64 v[128:129], v[132:133], s[6:7]
	v_mul_f64 v[130:131], v[134:135], s[6:7]
	;; [unrolled: 1-line block ×8, first 2 shown]
	v_fma_f64 v[195:196], v[195:196], s[18:19], v[152:153]
	v_fma_f64 v[197:198], v[197:198], s[18:19], v[154:155]
	;; [unrolled: 1-line block ×4, first 2 shown]
	v_fma_f64 v[132:133], v[199:200], s[20:21], -v[132:133]
	v_fma_f64 v[134:135], v[201:202], s[20:21], -v[134:135]
	;; [unrolled: 1-line block ×4, first 2 shown]
	v_fma_f64 v[199:200], v[180:181], s[24:25], v[203:204]
	v_fma_f64 v[201:202], v[182:183], s[24:25], v[205:206]
	v_fma_f64 v[144:145], v[144:145], s[14:15], -v[203:204]
	v_fma_f64 v[146:147], v[146:147], s[14:15], -v[205:206]
	;; [unrolled: 1-line block ×4, first 2 shown]
	v_add_f64 v[203:204], v[140:141], v[195:196]
	v_add_f64 v[205:206], v[142:143], v[197:198]
	;; [unrolled: 1-line block ×6, first 2 shown]
	v_fma_f64 v[201:202], v[138:139], s[26:27], v[201:202]
	v_fma_f64 v[199:200], v[136:137], s[26:27], v[199:200]
	v_fma_f64 v[207:208], v[138:139], s[26:27], v[182:183]
	v_fma_f64 v[209:210], v[136:137], s[26:27], v[180:181]
	v_fma_f64 v[146:147], v[138:139], s[26:27], v[146:147]
	v_fma_f64 v[144:145], v[136:137], s[26:27], v[144:145]
	v_add_f64 v[160:161], v[211:212], v[148:149]
	v_add_f64 v[162:163], v[150:151], -v[213:214]
	v_add_f64 v[180:181], v[148:149], -v[211:212]
	v_add_f64 v[182:183], v[213:214], v[150:151]
	v_add_f64 v[128:129], v[201:202], v[203:204]
	v_add_f64 v[130:131], v[205:206], -v[199:200]
	v_add_f64 v[132:133], v[207:208], v[195:196]
	v_add_f64 v[134:135], v[197:198], -v[209:210]
	v_add_f64 v[136:137], v[140:141], -v[146:147]
	v_add_f64 v[138:139], v[144:145], v[142:143]
	v_add_f64 v[140:141], v[146:147], v[140:141]
	v_add_f64 v[142:143], v[142:143], -v[144:145]
	v_add_f64 v[144:145], v[195:196], -v[207:208]
	v_add_f64 v[146:147], v[209:210], v[197:198]
	v_add_f64 v[148:149], v[203:204], -v[201:202]
	v_add_f64 v[150:151], v[199:200], v[205:206]
	ds_write_b128 v185, v[156:159]
	ds_write_b128 v185, v[160:163] offset:4096
	ds_write_b128 v185, v[164:167] offset:8192
	ds_write_b128 v185, v[168:171] offset:12288
	ds_write_b128 v185, v[172:175] offset:16384
	ds_write_b128 v185, v[176:179] offset:20480
	ds_write_b128 v185, v[180:183] offset:24576
	s_and_saveexec_b64 s[2:3], s[0:1]
	s_cbranch_execz .LBB0_5
; %bb.4:
	ds_write_b128 v185, v[152:155] offset:3584
	ds_write_b128 v185, v[128:131] offset:7680
	;; [unrolled: 1-line block ×7, first 2 shown]
.LBB0_5:
	s_or_b64 exec, exec, s[2:3]
	v_lshlrev_b32_e32 v152, 4, v186
	v_mov_b32_e32 v153, s13
	v_add_co_u32_e32 v170, vcc, s12, v152
	v_addc_co_u32_e32 v176, vcc, 0, v153, vcc
	s_movk_i32 s2, 0x7000
	v_add_co_u32_e32 v180, vcc, s2, v170
	s_mov_b32 s2, 0x8000
	v_add_co_u32_e64 v152, s[2:3], s2, v170
	v_addc_co_u32_e64 v153, s[2:3], 0, v176, s[2:3]
	s_mov_b32 s2, 0xa000
	v_add_co_u32_e64 v156, s[2:3], s2, v170
	v_addc_co_u32_e64 v157, s[2:3], 0, v176, s[2:3]
	;; [unrolled: 3-line block ×4, first 2 shown]
	s_mov_b32 s2, 0xb000
	v_add_co_u32_e64 v168, s[2:3], s2, v170
	s_waitcnt lgkmcnt(0)
	s_barrier
	global_load_dwordx4 v[152:155], v[152:153], off offset:3072
	s_nop 0
	global_load_dwordx4 v[156:159], v[156:157], off offset:2048
	v_addc_co_u32_e64 v169, s[2:3], 0, v176, s[2:3]
	s_mov_b32 s2, 0xd000
	global_load_dwordx4 v[160:163], v[160:161], off offset:1024
	s_nop 0
	global_load_dwordx4 v[164:167], v[164:165], off offset:2560
	v_add_co_u32_e64 v172, s[2:3], s2, v170
	v_addc_co_u32_e64 v173, s[2:3], 0, v176, s[2:3]
	global_load_dwordx4 v[168:171], v[168:169], off offset:1536
	s_nop 0
	global_load_dwordx4 v[172:175], v[172:173], off offset:512
	v_addc_co_u32_e32 v181, vcc, 0, v176, vcc
	global_load_dwordx4 v[176:179], v[180:181], off
	s_nop 0
	global_load_dwordx4 v[180:183], v[180:181], off offset:3584
	ds_read_b128 v[195:198], v185
	ds_read_b128 v[199:202], v185 offset:3584
	ds_read_b128 v[203:206], v185 offset:7168
	ds_read_b128 v[207:210], v185 offset:10752
	ds_read_b128 v[211:214], v185 offset:14336
	ds_read_b128 v[215:218], v185 offset:17920
	ds_read_b128 v[219:222], v185 offset:21504
	ds_read_b128 v[223:226], v185 offset:25088
	s_waitcnt vmcnt(7) lgkmcnt(5)
	v_mul_f64 v[227:228], v[205:206], v[154:155]
	v_mul_f64 v[154:155], v[203:204], v[154:155]
	s_waitcnt vmcnt(6) lgkmcnt(3)
	v_mul_f64 v[229:230], v[213:214], v[158:159]
	v_mul_f64 v[158:159], v[211:212], v[158:159]
	;; [unrolled: 3-line block ×3, first 2 shown]
	s_waitcnt vmcnt(4)
	v_mul_f64 v[233:234], v[209:210], v[166:167]
	v_mul_f64 v[166:167], v[207:208], v[166:167]
	v_fma_f64 v[203:204], v[203:204], v[152:153], -v[227:228]
	s_waitcnt vmcnt(3)
	v_mul_f64 v[235:236], v[217:218], v[170:171]
	v_mul_f64 v[170:171], v[215:216], v[170:171]
	s_waitcnt vmcnt(2) lgkmcnt(0)
	v_mul_f64 v[237:238], v[225:226], v[174:175]
	v_mul_f64 v[174:175], v[223:224], v[174:175]
	s_waitcnt vmcnt(1)
	v_mul_f64 v[239:240], v[197:198], v[178:179]
	v_mul_f64 v[178:179], v[195:196], v[178:179]
	s_waitcnt vmcnt(0)
	v_mul_f64 v[241:242], v[201:202], v[182:183]
	v_mul_f64 v[182:183], v[199:200], v[182:183]
	v_fma_f64 v[205:206], v[205:206], v[152:153], v[154:155]
	v_fma_f64 v[152:153], v[211:212], v[156:157], -v[229:230]
	v_fma_f64 v[154:155], v[213:214], v[156:157], v[158:159]
	v_fma_f64 v[156:157], v[219:220], v[160:161], -v[231:232]
	;; [unrolled: 2-line block ×7, first 2 shown]
	v_fma_f64 v[178:179], v[201:202], v[180:181], v[182:183]
	ds_write_b128 v185, v[203:206] offset:7168
	ds_write_b128 v185, v[152:155] offset:14336
	;; [unrolled: 1-line block ×6, first 2 shown]
	ds_write_b128 v185, v[172:175]
	ds_write_b128 v185, v[176:179] offset:3584
	s_waitcnt lgkmcnt(0)
	s_barrier
	ds_read_b128 v[152:155], v185 offset:14336
	ds_read_b128 v[156:159], v185 offset:21504
	ds_read_b128 v[160:163], v185
	ds_read_b128 v[164:167], v185 offset:3584
	ds_read_b128 v[168:171], v185 offset:7168
	;; [unrolled: 1-line block ×5, first 2 shown]
	s_waitcnt lgkmcnt(5)
	v_add_f64 v[195:196], v[160:161], -v[152:153]
	v_add_f64 v[197:198], v[162:163], -v[154:155]
	s_waitcnt lgkmcnt(3)
	v_add_f64 v[199:200], v[168:169], -v[156:157]
	v_add_f64 v[156:157], v[170:171], -v[158:159]
	;; [unrolled: 3-line block ×4, first 2 shown]
	v_fma_f64 v[180:181], v[160:161], 2.0, -v[195:196]
	v_fma_f64 v[182:183], v[162:163], 2.0, -v[197:198]
	;; [unrolled: 1-line block ×8, first 2 shown]
	v_add_f64 v[156:157], v[195:196], v[156:157]
	v_add_f64 v[158:159], v[197:198], -v[199:200]
	v_add_f64 v[152:153], v[180:181], -v[152:153]
	v_add_f64 v[154:155], v[182:183], -v[154:155]
	v_add_f64 v[164:165], v[201:202], v[178:179]
	v_add_f64 v[166:167], v[203:204], -v[176:177]
	v_add_f64 v[160:161], v[205:206], -v[160:161]
	;; [unrolled: 1-line block ×3, first 2 shown]
	v_fma_f64 v[172:173], v[195:196], 2.0, -v[156:157]
	v_fma_f64 v[174:175], v[197:198], 2.0, -v[158:159]
	;; [unrolled: 1-line block ×8, first 2 shown]
	s_barrier
	ds_write_b128 v187, v[168:171]
	ds_write_b128 v187, v[172:175] offset:16
	ds_write_b128 v187, v[152:155] offset:32
	;; [unrolled: 1-line block ×3, first 2 shown]
	ds_write_b128 v188, v[176:179]
	ds_write_b128 v188, v[180:183] offset:16
	ds_write_b128 v188, v[160:163] offset:32
	ds_write_b128 v188, v[164:167] offset:48
	s_waitcnt lgkmcnt(0)
	s_barrier
	ds_read_b128 v[152:155], v185 offset:7168
	ds_read_b128 v[156:159], v185 offset:14336
	;; [unrolled: 1-line block ×4, first 2 shown]
	ds_read_b128 v[168:171], v185
	ds_read_b128 v[172:175], v185 offset:3584
	ds_read_b128 v[176:179], v185 offset:21504
	ds_read_b128 v[180:183], v185 offset:25088
	s_waitcnt lgkmcnt(7)
	v_mul_f64 v[187:188], v[42:43], v[154:155]
	v_mul_f64 v[195:196], v[42:43], v[152:153]
	s_waitcnt lgkmcnt(6)
	v_mul_f64 v[197:198], v[38:39], v[158:159]
	v_mul_f64 v[199:200], v[38:39], v[156:157]
	s_waitcnt lgkmcnt(0)
	v_mul_f64 v[201:202], v[34:35], v[182:183]
	s_barrier
	v_fma_f64 v[152:153], v[40:41], v[152:153], v[187:188]
	v_fma_f64 v[154:155], v[40:41], v[154:155], -v[195:196]
	v_mul_f64 v[187:188], v[34:35], v[178:179]
	v_mul_f64 v[195:196], v[34:35], v[176:177]
	v_fma_f64 v[156:157], v[36:37], v[156:157], v[197:198]
	v_fma_f64 v[158:159], v[36:37], v[158:159], -v[199:200]
	v_mul_f64 v[197:198], v[42:43], v[162:163]
	v_mul_f64 v[42:43], v[42:43], v[160:161]
	;; [unrolled: 1-line block ×5, first 2 shown]
	v_fma_f64 v[176:177], v[32:33], v[176:177], v[187:188]
	v_fma_f64 v[178:179], v[32:33], v[178:179], -v[195:196]
	v_fma_f64 v[160:161], v[40:41], v[160:161], v[197:198]
	v_fma_f64 v[40:41], v[40:41], v[162:163], -v[42:43]
	;; [unrolled: 2-line block ×4, first 2 shown]
	v_add_f64 v[162:163], v[168:169], -v[156:157]
	v_add_f64 v[164:165], v[170:171], -v[158:159]
	;; [unrolled: 1-line block ×8, first 2 shown]
	v_fma_f64 v[168:169], v[168:169], 2.0, -v[162:163]
	v_fma_f64 v[170:171], v[170:171], 2.0, -v[164:165]
	;; [unrolled: 1-line block ×8, first 2 shown]
	v_add_f64 v[36:37], v[162:163], v[158:159]
	v_add_f64 v[38:39], v[164:165], -v[156:157]
	v_add_f64 v[32:33], v[168:169], -v[32:33]
	;; [unrolled: 1-line block ×6, first 2 shown]
	v_add_f64 v[152:153], v[176:177], v[180:181]
	v_fma_f64 v[160:161], v[162:163], 2.0, -v[36:37]
	v_fma_f64 v[156:157], v[168:169], 2.0, -v[32:33]
	;; [unrolled: 1-line block ×8, first 2 shown]
	ds_write_b128 v189, v[156:159]
	ds_write_b128 v189, v[160:163] offset:64
	ds_write_b128 v189, v[32:35] offset:128
	;; [unrolled: 1-line block ×3, first 2 shown]
	ds_write_b128 v190, v[164:167]
	ds_write_b128 v190, v[168:171] offset:64
	ds_write_b128 v190, v[40:43] offset:128
	ds_write_b128 v190, v[152:155] offset:192
	s_waitcnt lgkmcnt(0)
	s_barrier
	ds_read_b128 v[32:35], v185 offset:7168
	ds_read_b128 v[36:39], v185 offset:14336
	;; [unrolled: 1-line block ×4, first 2 shown]
	ds_read_b128 v[156:159], v185
	ds_read_b128 v[160:163], v185 offset:3584
	ds_read_b128 v[164:167], v185 offset:21504
	;; [unrolled: 1-line block ×3, first 2 shown]
	s_waitcnt lgkmcnt(7)
	v_mul_f64 v[172:173], v[54:55], v[34:35]
	v_mul_f64 v[174:175], v[54:55], v[32:33]
	s_waitcnt lgkmcnt(6)
	v_mul_f64 v[176:177], v[50:51], v[38:39]
	v_mul_f64 v[178:179], v[50:51], v[36:37]
	s_waitcnt lgkmcnt(0)
	v_mul_f64 v[180:181], v[46:47], v[170:171]
	s_barrier
	v_fma_f64 v[32:33], v[52:53], v[32:33], v[172:173]
	v_fma_f64 v[34:35], v[52:53], v[34:35], -v[174:175]
	v_mul_f64 v[172:173], v[46:47], v[166:167]
	v_mul_f64 v[174:175], v[46:47], v[164:165]
	v_fma_f64 v[36:37], v[48:49], v[36:37], v[176:177]
	v_fma_f64 v[38:39], v[48:49], v[38:39], -v[178:179]
	v_mul_f64 v[176:177], v[54:55], v[42:43]
	v_mul_f64 v[54:55], v[54:55], v[40:41]
	;; [unrolled: 1-line block ×5, first 2 shown]
	v_fma_f64 v[164:165], v[44:45], v[164:165], v[172:173]
	v_fma_f64 v[166:167], v[44:45], v[166:167], -v[174:175]
	v_fma_f64 v[40:41], v[52:53], v[40:41], v[176:177]
	v_fma_f64 v[42:43], v[52:53], v[42:43], -v[54:55]
	;; [unrolled: 2-line block ×4, first 2 shown]
	v_add_f64 v[54:55], v[156:157], -v[36:37]
	v_add_f64 v[152:153], v[158:159], -v[38:39]
	;; [unrolled: 1-line block ×8, first 2 shown]
	v_fma_f64 v[48:49], v[156:157], 2.0, -v[54:55]
	v_fma_f64 v[50:51], v[158:159], 2.0, -v[152:153]
	;; [unrolled: 1-line block ×8, first 2 shown]
	v_add_f64 v[36:37], v[54:55], v[36:37]
	v_add_f64 v[38:39], v[152:153], -v[38:39]
	v_add_f64 v[32:33], v[48:49], -v[32:33]
	;; [unrolled: 1-line block ×3, first 2 shown]
	v_add_f64 v[44:45], v[164:165], v[44:45]
	v_add_f64 v[46:47], v[166:167], -v[46:47]
	v_add_f64 v[40:41], v[154:155], -v[40:41]
	;; [unrolled: 1-line block ×3, first 2 shown]
	v_fma_f64 v[52:53], v[54:55], 2.0, -v[36:37]
	v_fma_f64 v[54:55], v[152:153], 2.0, -v[38:39]
	;; [unrolled: 1-line block ×8, first 2 shown]
	ds_write_b128 v192, v[48:51]
	ds_write_b128 v192, v[52:55] offset:256
	ds_write_b128 v192, v[32:35] offset:512
	;; [unrolled: 1-line block ×3, first 2 shown]
	ds_write_b128 v191, v[152:155]
	ds_write_b128 v191, v[156:159] offset:256
	ds_write_b128 v191, v[40:43] offset:512
	;; [unrolled: 1-line block ×3, first 2 shown]
	s_waitcnt lgkmcnt(0)
	s_barrier
	ds_read_b128 v[32:35], v185 offset:7168
	ds_read_b128 v[36:39], v185 offset:14336
	;; [unrolled: 1-line block ×4, first 2 shown]
	ds_read_b128 v[48:51], v185
	ds_read_b128 v[52:55], v185 offset:3584
	ds_read_b128 v[152:155], v185 offset:21504
	;; [unrolled: 1-line block ×3, first 2 shown]
	s_waitcnt lgkmcnt(7)
	v_mul_f64 v[160:161], v[70:71], v[34:35]
	v_mul_f64 v[70:71], v[70:71], v[32:33]
	s_waitcnt lgkmcnt(6)
	v_mul_f64 v[162:163], v[74:75], v[38:39]
	v_mul_f64 v[74:75], v[74:75], v[36:37]
	s_waitcnt lgkmcnt(0)
	s_barrier
	v_fma_f64 v[32:33], v[68:69], v[32:33], v[160:161]
	v_fma_f64 v[34:35], v[68:69], v[34:35], -v[70:71]
	v_mul_f64 v[68:69], v[58:59], v[154:155]
	v_mul_f64 v[58:59], v[58:59], v[152:153]
	v_fma_f64 v[36:37], v[72:73], v[36:37], v[162:163]
	v_fma_f64 v[38:39], v[72:73], v[38:39], -v[74:75]
	v_mul_f64 v[70:71], v[66:67], v[42:43]
	v_mul_f64 v[66:67], v[66:67], v[40:41]
	;; [unrolled: 1-line block ×6, first 2 shown]
	v_fma_f64 v[68:69], v[56:57], v[152:153], v[68:69]
	v_fma_f64 v[56:57], v[56:57], v[154:155], -v[58:59]
	v_fma_f64 v[40:41], v[64:65], v[40:41], v[70:71]
	v_fma_f64 v[42:43], v[64:65], v[42:43], -v[66:67]
	;; [unrolled: 2-line block ×4, first 2 shown]
	v_add_f64 v[62:63], v[48:49], -v[36:37]
	v_add_f64 v[64:65], v[50:51], -v[38:39]
	;; [unrolled: 1-line block ×8, first 2 shown]
	v_fma_f64 v[48:49], v[48:49], 2.0, -v[62:63]
	v_fma_f64 v[50:51], v[50:51], 2.0, -v[64:65]
	v_fma_f64 v[32:33], v[32:33], 2.0, -v[66:67]
	v_fma_f64 v[34:35], v[34:35], 2.0, -v[56:57]
	v_fma_f64 v[72:73], v[52:53], 2.0, -v[68:69]
	v_fma_f64 v[74:75], v[54:55], 2.0, -v[70:71]
	v_fma_f64 v[44:45], v[40:41], 2.0, -v[58:59]
	v_fma_f64 v[46:47], v[42:43], 2.0, -v[60:61]
	v_add_f64 v[40:41], v[62:63], v[56:57]
	v_add_f64 v[42:43], v[64:65], -v[66:67]
	v_add_f64 v[36:37], v[48:49], -v[32:33]
	;; [unrolled: 1-line block ×3, first 2 shown]
	v_add_f64 v[32:33], v[68:69], v[60:61]
	v_add_f64 v[34:35], v[70:71], -v[58:59]
	v_add_f64 v[44:45], v[72:73], -v[44:45]
	;; [unrolled: 1-line block ×3, first 2 shown]
	v_fma_f64 v[52:53], v[62:63], 2.0, -v[40:41]
	v_fma_f64 v[54:55], v[64:65], 2.0, -v[42:43]
	;; [unrolled: 1-line block ×8, first 2 shown]
	ds_write_b128 v194, v[48:51]
	ds_write_b128 v194, v[52:55] offset:1024
	ds_write_b128 v194, v[36:39] offset:2048
	;; [unrolled: 1-line block ×3, first 2 shown]
	ds_write_b128 v193, v[56:59]
	ds_write_b128 v193, v[60:63] offset:1024
	ds_write_b128 v193, v[44:47] offset:2048
	;; [unrolled: 1-line block ×3, first 2 shown]
	s_waitcnt lgkmcnt(0)
	s_barrier
	ds_read_b128 v[36:39], v185
	ds_read_b128 v[60:63], v185 offset:4096
	ds_read_b128 v[56:59], v185 offset:8192
	;; [unrolled: 1-line block ×6, first 2 shown]
	s_and_saveexec_b64 s[2:3], s[0:1]
	s_cbranch_execz .LBB0_7
; %bb.6:
	ds_read_b128 v[32:35], v185 offset:3584
	ds_read_b128 v[128:131], v185 offset:7680
	;; [unrolled: 1-line block ×7, first 2 shown]
.LBB0_7:
	s_or_b64 exec, exec, s[2:3]
	s_waitcnt lgkmcnt(5)
	v_mul_f64 v[64:65], v[110:111], v[62:63]
	s_waitcnt lgkmcnt(4)
	v_mul_f64 v[70:71], v[106:107], v[56:57]
	v_mul_f64 v[66:67], v[110:111], v[60:61]
	;; [unrolled: 1-line block ×3, first 2 shown]
	s_waitcnt lgkmcnt(0)
	v_mul_f64 v[72:73], v[126:127], v[54:55]
	v_mul_f64 v[74:75], v[122:123], v[48:49]
	;; [unrolled: 1-line block ×4, first 2 shown]
	v_fma_f64 v[60:61], v[108:109], v[60:61], v[64:65]
	v_fma_f64 v[58:59], v[104:105], v[58:59], -v[70:71]
	v_mul_f64 v[64:65], v[126:127], v[52:53]
	v_mul_f64 v[70:71], v[122:123], v[50:51]
	v_fma_f64 v[62:63], v[108:109], v[62:63], -v[66:67]
	v_fma_f64 v[56:57], v[104:105], v[56:57], v[68:69]
	v_mul_f64 v[66:67], v[118:119], v[46:47]
	v_mul_f64 v[68:69], v[118:119], v[44:45]
	v_fma_f64 v[52:53], v[124:125], v[52:53], v[72:73]
	v_fma_f64 v[50:51], v[120:121], v[50:51], -v[74:75]
	v_fma_f64 v[54:55], v[124:125], v[54:55], -v[64:65]
	v_fma_f64 v[48:49], v[120:121], v[48:49], v[70:71]
	v_fma_f64 v[40:41], v[112:113], v[40:41], v[92:93]
	v_fma_f64 v[42:43], v[112:113], v[42:43], -v[94:95]
	v_fma_f64 v[44:45], v[116:117], v[44:45], v[66:67]
	v_fma_f64 v[46:47], v[116:117], v[46:47], -v[68:69]
	v_add_f64 v[64:65], v[60:61], v[52:53]
	v_add_f64 v[52:53], v[60:61], -v[52:53]
	v_add_f64 v[66:67], v[62:63], v[54:55]
	v_add_f64 v[54:55], v[62:63], -v[54:55]
	v_add_f64 v[60:61], v[56:57], v[48:49]
	v_add_f64 v[62:63], v[58:59], v[50:51]
	v_add_f64 v[48:49], v[56:57], -v[48:49]
	v_add_f64 v[50:51], v[58:59], -v[50:51]
	v_add_f64 v[56:57], v[44:45], v[40:41]
	v_add_f64 v[58:59], v[46:47], v[42:43]
	v_add_f64 v[40:41], v[40:41], -v[44:45]
	;; [unrolled: 4-line block ×3, first 2 shown]
	v_add_f64 v[70:71], v[62:63], -v[66:67]
	v_add_f64 v[64:65], v[64:65], -v[56:57]
	;; [unrolled: 1-line block ×5, first 2 shown]
	v_add_f64 v[72:73], v[40:41], v[48:49]
	v_add_f64 v[74:75], v[42:43], v[50:51]
	v_add_f64 v[92:93], v[40:41], -v[48:49]
	v_add_f64 v[94:95], v[42:43], -v[50:51]
	v_add_f64 v[44:45], v[56:57], v[44:45]
	v_add_f64 v[46:47], v[58:59], v[46:47]
	v_add_f64 v[48:49], v[48:49], -v[52:53]
	v_add_f64 v[50:51], v[50:51], -v[54:55]
	s_mov_b32 s14, 0x37e14327
	s_mov_b32 s6, 0x36b3c0b5
	;; [unrolled: 1-line block ×7, first 2 shown]
	v_add_f64 v[40:41], v[52:53], -v[40:41]
	v_add_f64 v[42:43], v[54:55], -v[42:43]
	v_add_f64 v[52:53], v[72:73], v[52:53]
	v_add_f64 v[54:55], v[74:75], v[54:55]
	;; [unrolled: 1-line block ×4, first 2 shown]
	v_mul_f64 v[56:57], v[64:65], s[14:15]
	v_mul_f64 v[58:59], v[66:67], s[14:15]
	;; [unrolled: 1-line block ×6, first 2 shown]
	s_mov_b32 s3, 0xbfebfeb5
	v_mul_f64 v[92:93], v[48:49], s[2:3]
	v_mul_f64 v[94:95], v[50:51], s[2:3]
	s_mov_b32 s24, 0xaaaaaaaa
	s_mov_b32 s12, 0x5476071b
	;; [unrolled: 1-line block ×8, first 2 shown]
	v_fma_f64 v[44:45], v[44:45], s[24:25], v[36:37]
	v_fma_f64 v[46:47], v[46:47], s[24:25], v[38:39]
	;; [unrolled: 1-line block ×4, first 2 shown]
	v_fma_f64 v[64:65], v[68:69], s[12:13], -v[64:65]
	v_fma_f64 v[66:67], v[70:71], s[12:13], -v[66:67]
	;; [unrolled: 1-line block ×4, first 2 shown]
	v_fma_f64 v[68:69], v[40:41], s[26:27], v[72:73]
	v_fma_f64 v[70:71], v[42:43], s[26:27], v[74:75]
	s_mov_b32 s23, 0x3fd5d0dc
	s_mov_b32 s22, s26
	v_fma_f64 v[40:41], v[40:41], s[22:23], -v[92:93]
	v_fma_f64 v[42:43], v[42:43], s[22:23], -v[94:95]
	;; [unrolled: 1-line block ×4, first 2 shown]
	s_mov_b32 s20, 0x37c3f68c
	s_mov_b32 s21, 0xbfdc38aa
	v_add_f64 v[60:61], v[60:61], v[44:45]
	v_add_f64 v[62:63], v[62:63], v[46:47]
	v_fma_f64 v[70:71], v[54:55], s[20:21], v[70:71]
	v_fma_f64 v[68:69], v[52:53], s[20:21], v[68:69]
	v_add_f64 v[56:57], v[56:57], v[44:45]
	v_add_f64 v[58:59], v[58:59], v[46:47]
	v_fma_f64 v[72:73], v[54:55], s[20:21], v[42:43]
	v_fma_f64 v[74:75], v[52:53], s[20:21], v[40:41]
	;; [unrolled: 4-line block ×3, first 2 shown]
	v_add_f64 v[40:41], v[70:71], v[60:61]
	v_add_f64 v[42:43], v[62:63], -v[68:69]
	v_add_f64 v[44:45], v[72:73], v[56:57]
	v_add_f64 v[46:47], v[58:59], -v[74:75]
	v_add_f64 v[56:57], v[56:57], -v[72:73]
	v_add_f64 v[58:59], v[74:75], v[58:59]
	v_add_f64 v[48:49], v[64:65], -v[54:55]
	v_add_f64 v[50:51], v[92:93], v[66:67]
	v_add_f64 v[52:53], v[54:55], v[64:65]
	v_add_f64 v[54:55], v[66:67], -v[92:93]
	v_add_f64 v[60:61], v[60:61], -v[70:71]
	v_add_f64 v[62:63], v[68:69], v[62:63]
	ds_write_b128 v185, v[36:39]
	ds_write_b128 v185, v[40:43] offset:4096
	ds_write_b128 v185, v[44:47] offset:8192
	;; [unrolled: 1-line block ×6, first 2 shown]
	s_and_saveexec_b64 s[28:29], s[0:1]
	s_cbranch_execz .LBB0_9
; %bb.8:
	v_mul_f64 v[44:45], v[102:103], v[148:149]
	v_mul_f64 v[46:47], v[90:91], v[128:129]
	;; [unrolled: 1-line block ×8, first 2 shown]
	v_fma_f64 v[44:45], v[100:101], v[150:151], -v[44:45]
	v_fma_f64 v[46:47], v[88:89], v[130:131], -v[46:47]
	v_mul_f64 v[56:57], v[86:87], v[136:137]
	v_mul_f64 v[58:59], v[82:83], v[140:141]
	v_fma_f64 v[48:49], v[96:97], v[146:147], -v[48:49]
	v_fma_f64 v[50:51], v[76:77], v[134:135], -v[50:51]
	v_mul_f64 v[40:41], v[90:91], v[130:131]
	v_mul_f64 v[42:43], v[102:103], v[150:151]
	v_fma_f64 v[36:37], v[80:81], v[140:141], v[36:37]
	v_fma_f64 v[38:39], v[84:85], v[136:137], v[38:39]
	;; [unrolled: 1-line block ×4, first 2 shown]
	v_fma_f64 v[56:57], v[84:85], v[138:139], -v[56:57]
	v_fma_f64 v[58:59], v[80:81], v[142:143], -v[58:59]
	v_add_f64 v[60:61], v[46:47], v[44:45]
	v_add_f64 v[62:63], v[50:51], v[48:49]
	v_fma_f64 v[40:41], v[88:89], v[128:129], v[40:41]
	v_fma_f64 v[42:43], v[100:101], v[148:149], v[42:43]
	v_add_f64 v[64:65], v[36:37], -v[38:39]
	v_add_f64 v[66:67], v[52:53], -v[54:55]
	v_add_f64 v[36:37], v[38:39], v[36:37]
	v_add_f64 v[68:69], v[56:57], v[58:59]
	v_add_f64 v[56:57], v[58:59], -v[56:57]
	v_add_f64 v[70:71], v[62:63], v[60:61]
	v_add_f64 v[48:49], v[50:51], -v[48:49]
	v_add_f64 v[72:73], v[40:41], -v[42:43]
	v_add_f64 v[40:41], v[40:41], v[42:43]
	v_add_f64 v[74:75], v[64:65], -v[66:67]
	v_add_f64 v[42:43], v[52:53], v[54:55]
	v_add_f64 v[52:53], v[60:61], -v[68:69]
	v_add_f64 v[38:39], v[68:69], -v[62:63]
	v_add_f64 v[54:55], v[68:69], v[70:71]
	v_add_f64 v[44:45], v[46:47], -v[44:45]
	v_add_f64 v[70:71], v[72:73], -v[64:65]
	v_add_f64 v[64:65], v[64:65], v[66:67]
	v_mul_f64 v[74:75], v[74:75], s[16:17]
	v_add_f64 v[76:77], v[42:43], v[40:41]
	v_mul_f64 v[52:53], v[52:53], s[14:15]
	v_add_f64 v[46:47], v[40:41], -v[36:37]
	v_add_f64 v[34:35], v[34:35], v[54:55]
	v_add_f64 v[50:51], v[66:67], -v[72:73]
	v_add_f64 v[80:81], v[48:49], -v[44:45]
	v_add_f64 v[64:65], v[64:65], v[72:73]
	v_add_f64 v[72:73], v[56:57], -v[48:49]
	v_add_f64 v[68:69], v[36:37], v[76:77]
	v_fma_f64 v[76:77], v[70:71], s[26:27], v[74:75]
	v_fma_f64 v[78:79], v[38:39], s[6:7], v[52:53]
	;; [unrolled: 1-line block ×3, first 2 shown]
	v_add_f64 v[36:37], v[36:37], -v[42:43]
	v_mul_f64 v[46:47], v[46:47], s[14:15]
	v_add_f64 v[48:49], v[56:57], v[48:49]
	v_mul_f64 v[72:73], v[72:73], s[16:17]
	v_add_f64 v[32:33], v[32:33], v[68:69]
	v_fma_f64 v[58:59], v[64:65], s[20:21], v[76:77]
	v_mul_f64 v[76:77], v[50:51], s[2:3]
	v_add_f64 v[66:67], v[78:79], v[54:55]
	v_add_f64 v[78:79], v[44:45], -v[56:57]
	v_add_f64 v[60:61], v[62:63], -v[60:61]
	;; [unrolled: 1-line block ×3, first 2 shown]
	v_mul_f64 v[42:43], v[80:81], s[2:3]
	v_mul_f64 v[62:63], v[38:39], s[6:7]
	;; [unrolled: 1-line block ×3, first 2 shown]
	v_fma_f64 v[68:69], v[68:69], s[24:25], v[32:33]
	v_fma_f64 v[36:37], v[36:37], s[6:7], v[46:47]
	v_fma_f64 v[70:71], v[70:71], s[22:23], -v[76:77]
	v_fma_f64 v[76:77], v[78:79], s[26:27], v[72:73]
	v_add_f64 v[44:45], v[48:49], v[44:45]
	v_fma_f64 v[52:53], v[60:61], s[18:19], -v[52:53]
	v_fma_f64 v[50:51], v[50:51], s[2:3], -v[74:75]
	;; [unrolled: 1-line block ×7, first 2 shown]
	v_add_f64 v[36:37], v[36:37], v[68:69]
	v_fma_f64 v[62:63], v[44:45], s[20:21], v[76:77]
	v_fma_f64 v[60:61], v[64:65], s[20:21], v[70:71]
	v_add_f64 v[52:53], v[52:53], v[54:55]
	v_fma_f64 v[50:51], v[64:65], s[20:21], v[50:51]
	v_add_f64 v[64:65], v[46:47], v[68:69]
	;; [unrolled: 2-line block ×3, first 2 shown]
	v_add_f64 v[40:41], v[40:41], v[68:69]
	v_fma_f64 v[44:45], v[44:45], s[20:21], v[56:57]
	v_add_f64 v[38:39], v[58:59], v[66:67]
	v_add_f64 v[58:59], v[66:67], -v[58:59]
	v_add_f64 v[56:57], v[62:63], v[36:37]
	v_add_f64 v[42:43], v[60:61], v[52:53]
	v_add_f64 v[54:55], v[52:53], -v[60:61]
	v_add_f64 v[52:53], v[70:71], v[64:65]
	v_add_f64 v[46:47], v[48:49], -v[50:51]
	;; [unrolled: 2-line block ×4, first 2 shown]
	v_add_f64 v[36:37], v[36:37], -v[62:63]
	ds_write_b128 v185, v[32:35] offset:3584
	ds_write_b128 v185, v[56:59] offset:7680
	;; [unrolled: 1-line block ×7, first 2 shown]
.LBB0_9:
	s_or_b64 exec, exec, s[28:29]
	s_waitcnt lgkmcnt(0)
	s_barrier
	ds_read_b128 v[32:35], v185
	ds_read_b128 v[36:39], v185 offset:3584
	v_mad_u64_u32 v[40:41], s[0:1], s10, v184, 0
	v_mov_b32_e32 v50, s5
	s_waitcnt lgkmcnt(1)
	v_mul_f64 v[42:43], v[30:31], v[34:35]
	v_mul_f64 v[30:31], v[30:31], v[32:33]
	s_mul_i32 s5, s8, 0x1c00
	v_mad_u64_u32 v[44:45], s[0:1], s11, v184, v[41:42]
	v_fma_f64 v[32:33], v[28:29], v[32:33], v[42:43]
	v_fma_f64 v[30:31], v[28:29], v[34:35], -v[30:31]
	v_mov_b32_e32 v41, v44
	v_mad_u64_u32 v[44:45], s[0:1], s8, v186, 0
	s_mov_b32 s0, 0x92492492
	s_mov_b32 s1, 0x3f424924
	v_mov_b32_e32 v28, v45
	v_mad_u64_u32 v[42:43], s[2:3], s9, v186, v[28:29]
	v_mul_f64 v[28:29], v[32:33], s[0:1]
	ds_read_b128 v[32:35], v185 offset:7168
	v_mov_b32_e32 v45, v42
	v_lshlrev_b64 v[46:47], 4, v[40:41]
	ds_read_b128 v[40:43], v185 offset:10752
	v_mul_f64 v[30:31], v[30:31], s[0:1]
	s_waitcnt lgkmcnt(1)
	v_mul_f64 v[48:49], v[2:3], v[34:35]
	v_mul_f64 v[2:3], v[2:3], v[32:33]
	v_add_co_u32_e32 v46, vcc, s4, v46
	v_lshlrev_b64 v[44:45], 4, v[44:45]
	v_addc_co_u32_e32 v47, vcc, v50, v47, vcc
	s_mul_i32 s2, s9, 0x1c00
	v_fma_f64 v[32:33], v[0:1], v[32:33], v[48:49]
	v_fma_f64 v[34:35], v[0:1], v[34:35], -v[2:3]
	ds_read_b128 v[0:3], v185 offset:14336
	v_add_co_u32_e32 v48, vcc, v46, v44
	v_addc_co_u32_e32 v49, vcc, v47, v45, vcc
	global_store_dwordx4 v[48:49], v[28:31], off
	ds_read_b128 v[44:47], v185 offset:21504
	v_mul_f64 v[28:29], v[32:33], s[0:1]
	v_mul_f64 v[30:31], v[34:35], s[0:1]
	ds_read_b128 v[32:35], v185 offset:17920
	s_waitcnt lgkmcnt(2)
	v_mul_f64 v[50:51], v[6:7], v[2:3]
	v_mul_f64 v[6:7], v[6:7], v[0:1]
	s_mul_hi_u32 s3, s8, 0x1c00
	s_add_i32 s4, s3, s2
	v_mov_b32_e32 v54, s4
	v_add_co_u32_e32 v48, vcc, s5, v48
	v_addc_co_u32_e32 v49, vcc, v49, v54, vcc
	v_fma_f64 v[50:51], v[4:5], v[0:1], v[50:51]
	v_fma_f64 v[6:7], v[4:5], v[2:3], -v[6:7]
	ds_read_b128 v[0:3], v185 offset:25088
	s_waitcnt lgkmcnt(2)
	v_mul_f64 v[52:53], v[14:15], v[46:47]
	v_mul_f64 v[14:15], v[14:15], v[44:45]
	global_store_dwordx4 v[48:49], v[28:31], off
	v_mul_f64 v[4:5], v[50:51], s[0:1]
	v_mul_f64 v[6:7], v[6:7], s[0:1]
	v_mov_b32_e32 v31, s4
	v_fma_f64 v[28:29], v[12:13], v[44:45], v[52:53]
	v_fma_f64 v[12:13], v[12:13], v[46:47], -v[14:15]
	v_mul_f64 v[14:15], v[10:11], v[38:39]
	v_mul_f64 v[10:11], v[10:11], v[36:37]
	v_add_co_u32_e32 v30, vcc, s5, v48
	v_addc_co_u32_e32 v31, vcc, v49, v31, vcc
	global_store_dwordx4 v[30:31], v[4:7], off
	s_nop 0
	v_mul_f64 v[4:5], v[28:29], s[0:1]
	v_mul_f64 v[6:7], v[12:13], s[0:1]
	v_fma_f64 v[12:13], v[8:9], v[36:37], v[14:15]
	v_mov_b32_e32 v14, s4
	v_fma_f64 v[8:9], v[8:9], v[38:39], -v[10:11]
	v_add_co_u32_e32 v10, vcc, s5, v30
	v_addc_co_u32_e32 v11, vcc, v31, v14, vcc
	global_store_dwordx4 v[10:11], v[4:7], off
	v_mul_f64 v[14:15], v[18:19], v[40:41]
	v_mul_f64 v[4:5], v[12:13], s[0:1]
	v_mul_f64 v[12:13], v[18:19], v[42:43]
	v_mul_f64 v[6:7], v[8:9], s[0:1]
	v_mov_b32_e32 v8, 0xffffba00
	v_mad_u64_u32 v[8:9], s[2:3], s8, v8, v[10:11]
	s_waitcnt lgkmcnt(0)
	v_mul_f64 v[18:19], v[26:27], v[2:3]
	s_mul_i32 s2, s9, 0xffffba00
	s_sub_i32 s2, s2, s8
	v_fma_f64 v[10:11], v[16:17], v[40:41], v[12:13]
	v_fma_f64 v[12:13], v[16:17], v[42:43], -v[14:15]
	v_mul_f64 v[14:15], v[22:23], v[34:35]
	v_mul_f64 v[16:17], v[22:23], v[32:33]
	;; [unrolled: 1-line block ×3, first 2 shown]
	v_add_u32_e32 v9, s2, v9
	global_store_dwordx4 v[8:9], v[4:7], off
	v_mov_b32_e32 v26, s4
	v_mul_f64 v[4:5], v[10:11], s[0:1]
	v_mul_f64 v[6:7], v[12:13], s[0:1]
	v_fma_f64 v[10:11], v[20:21], v[32:33], v[14:15]
	v_fma_f64 v[12:13], v[20:21], v[34:35], -v[16:17]
	v_fma_f64 v[14:15], v[24:25], v[0:1], v[18:19]
	v_fma_f64 v[16:17], v[24:25], v[2:3], -v[22:23]
	v_add_co_u32_e32 v8, vcc, s5, v8
	v_addc_co_u32_e32 v9, vcc, v9, v26, vcc
	v_mul_f64 v[0:1], v[10:11], s[0:1]
	v_mul_f64 v[2:3], v[12:13], s[0:1]
	global_store_dwordx4 v[8:9], v[4:7], off
	v_mov_b32_e32 v10, s4
	v_mul_f64 v[4:5], v[14:15], s[0:1]
	v_mul_f64 v[6:7], v[16:17], s[0:1]
	v_add_co_u32_e32 v8, vcc, s5, v8
	v_addc_co_u32_e32 v9, vcc, v9, v10, vcc
	global_store_dwordx4 v[8:9], v[0:3], off
	s_nop 0
	v_mov_b32_e32 v1, s4
	v_add_co_u32_e32 v0, vcc, s5, v8
	v_addc_co_u32_e32 v1, vcc, v9, v1, vcc
	global_store_dwordx4 v[0:1], v[4:7], off
.LBB0_10:
	s_endpgm
	.section	.rodata,"a",@progbits
	.p2align	6, 0x0
	.amdhsa_kernel bluestein_single_fwd_len1792_dim1_dp_op_CI_CI
		.amdhsa_group_segment_fixed_size 28672
		.amdhsa_private_segment_fixed_size 0
		.amdhsa_kernarg_size 104
		.amdhsa_user_sgpr_count 6
		.amdhsa_user_sgpr_private_segment_buffer 1
		.amdhsa_user_sgpr_dispatch_ptr 0
		.amdhsa_user_sgpr_queue_ptr 0
		.amdhsa_user_sgpr_kernarg_segment_ptr 1
		.amdhsa_user_sgpr_dispatch_id 0
		.amdhsa_user_sgpr_flat_scratch_init 0
		.amdhsa_user_sgpr_private_segment_size 0
		.amdhsa_uses_dynamic_stack 0
		.amdhsa_system_sgpr_private_segment_wavefront_offset 0
		.amdhsa_system_sgpr_workgroup_id_x 1
		.amdhsa_system_sgpr_workgroup_id_y 0
		.amdhsa_system_sgpr_workgroup_id_z 0
		.amdhsa_system_sgpr_workgroup_info 0
		.amdhsa_system_vgpr_workitem_id 0
		.amdhsa_next_free_vgpr 243
		.amdhsa_next_free_sgpr 30
		.amdhsa_reserve_vcc 1
		.amdhsa_reserve_flat_scratch 0
		.amdhsa_float_round_mode_32 0
		.amdhsa_float_round_mode_16_64 0
		.amdhsa_float_denorm_mode_32 3
		.amdhsa_float_denorm_mode_16_64 3
		.amdhsa_dx10_clamp 1
		.amdhsa_ieee_mode 1
		.amdhsa_fp16_overflow 0
		.amdhsa_exception_fp_ieee_invalid_op 0
		.amdhsa_exception_fp_denorm_src 0
		.amdhsa_exception_fp_ieee_div_zero 0
		.amdhsa_exception_fp_ieee_overflow 0
		.amdhsa_exception_fp_ieee_underflow 0
		.amdhsa_exception_fp_ieee_inexact 0
		.amdhsa_exception_int_div_zero 0
	.end_amdhsa_kernel
	.text
.Lfunc_end0:
	.size	bluestein_single_fwd_len1792_dim1_dp_op_CI_CI, .Lfunc_end0-bluestein_single_fwd_len1792_dim1_dp_op_CI_CI
                                        ; -- End function
	.section	.AMDGPU.csdata,"",@progbits
; Kernel info:
; codeLenInByte = 11340
; NumSgprs: 34
; NumVgprs: 243
; ScratchSize: 0
; MemoryBound: 0
; FloatMode: 240
; IeeeMode: 1
; LDSByteSize: 28672 bytes/workgroup (compile time only)
; SGPRBlocks: 4
; VGPRBlocks: 60
; NumSGPRsForWavesPerEU: 34
; NumVGPRsForWavesPerEU: 243
; Occupancy: 1
; WaveLimiterHint : 1
; COMPUTE_PGM_RSRC2:SCRATCH_EN: 0
; COMPUTE_PGM_RSRC2:USER_SGPR: 6
; COMPUTE_PGM_RSRC2:TRAP_HANDLER: 0
; COMPUTE_PGM_RSRC2:TGID_X_EN: 1
; COMPUTE_PGM_RSRC2:TGID_Y_EN: 0
; COMPUTE_PGM_RSRC2:TGID_Z_EN: 0
; COMPUTE_PGM_RSRC2:TIDIG_COMP_CNT: 0
	.type	__hip_cuid_6e5f98ffba5a9b0f,@object ; @__hip_cuid_6e5f98ffba5a9b0f
	.section	.bss,"aw",@nobits
	.globl	__hip_cuid_6e5f98ffba5a9b0f
__hip_cuid_6e5f98ffba5a9b0f:
	.byte	0                               ; 0x0
	.size	__hip_cuid_6e5f98ffba5a9b0f, 1

	.ident	"AMD clang version 19.0.0git (https://github.com/RadeonOpenCompute/llvm-project roc-6.4.0 25133 c7fe45cf4b819c5991fe208aaa96edf142730f1d)"
	.section	".note.GNU-stack","",@progbits
	.addrsig
	.addrsig_sym __hip_cuid_6e5f98ffba5a9b0f
	.amdgpu_metadata
---
amdhsa.kernels:
  - .args:
      - .actual_access:  read_only
        .address_space:  global
        .offset:         0
        .size:           8
        .value_kind:     global_buffer
      - .actual_access:  read_only
        .address_space:  global
        .offset:         8
        .size:           8
        .value_kind:     global_buffer
      - .actual_access:  read_only
        .address_space:  global
        .offset:         16
        .size:           8
        .value_kind:     global_buffer
      - .actual_access:  read_only
        .address_space:  global
        .offset:         24
        .size:           8
        .value_kind:     global_buffer
      - .actual_access:  read_only
        .address_space:  global
        .offset:         32
        .size:           8
        .value_kind:     global_buffer
      - .offset:         40
        .size:           8
        .value_kind:     by_value
      - .address_space:  global
        .offset:         48
        .size:           8
        .value_kind:     global_buffer
      - .address_space:  global
        .offset:         56
        .size:           8
        .value_kind:     global_buffer
      - .address_space:  global
        .offset:         64
        .size:           8
        .value_kind:     global_buffer
      - .address_space:  global
        .offset:         72
        .size:           8
        .value_kind:     global_buffer
      - .offset:         80
        .size:           4
        .value_kind:     by_value
      - .address_space:  global
        .offset:         88
        .size:           8
        .value_kind:     global_buffer
      - .address_space:  global
        .offset:         96
        .size:           8
        .value_kind:     global_buffer
    .group_segment_fixed_size: 28672
    .kernarg_segment_align: 8
    .kernarg_segment_size: 104
    .language:       OpenCL C
    .language_version:
      - 2
      - 0
    .max_flat_workgroup_size: 224
    .name:           bluestein_single_fwd_len1792_dim1_dp_op_CI_CI
    .private_segment_fixed_size: 0
    .sgpr_count:     34
    .sgpr_spill_count: 0
    .symbol:         bluestein_single_fwd_len1792_dim1_dp_op_CI_CI.kd
    .uniform_work_group_size: 1
    .uses_dynamic_stack: false
    .vgpr_count:     243
    .vgpr_spill_count: 0
    .wavefront_size: 64
amdhsa.target:   amdgcn-amd-amdhsa--gfx906
amdhsa.version:
  - 1
  - 2
...

	.end_amdgpu_metadata
